;; amdgpu-corpus repo=ROCm/rocFFT kind=compiled arch=gfx1030 opt=O3
	.text
	.amdgcn_target "amdgcn-amd-amdhsa--gfx1030"
	.amdhsa_code_object_version 6
	.protected	fft_rtc_fwd_len220_factors_10_2_11_wgs_110_tpt_22_dp_op_CI_CI_sbrr_dirReg ; -- Begin function fft_rtc_fwd_len220_factors_10_2_11_wgs_110_tpt_22_dp_op_CI_CI_sbrr_dirReg
	.globl	fft_rtc_fwd_len220_factors_10_2_11_wgs_110_tpt_22_dp_op_CI_CI_sbrr_dirReg
	.p2align	8
	.type	fft_rtc_fwd_len220_factors_10_2_11_wgs_110_tpt_22_dp_op_CI_CI_sbrr_dirReg,@function
fft_rtc_fwd_len220_factors_10_2_11_wgs_110_tpt_22_dp_op_CI_CI_sbrr_dirReg: ; @fft_rtc_fwd_len220_factors_10_2_11_wgs_110_tpt_22_dp_op_CI_CI_sbrr_dirReg
; %bb.0:
	s_clause 0x1
	s_load_dwordx4 s[16:19], s[4:5], 0x18
	s_load_dwordx4 s[12:15], s[4:5], 0x0
	v_mul_u32_u24_e32 v1, 0xba3, v0
	s_mov_b64 s[42:43], s[2:3]
	s_mov_b64 s[40:41], s[0:1]
	v_mov_b32_e32 v4, 0
	v_mov_b32_e32 v5, 0
	v_lshrrev_b32_e32 v2, 16, v1
	v_mov_b32_e32 v1, 0
	s_add_u32 s40, s40, s7
	s_addc_u32 s41, s41, 0
	v_mov_b32_e32 v85, v5
	v_mad_u64_u32 v[40:41], null, s6, 5, v[2:3]
	v_mov_b32_e32 v41, v1
	v_mov_b32_e32 v84, v4
	s_load_dwordx4 s[8:11], s[4:5], 0x58
	s_waitcnt lgkmcnt(0)
	s_load_dwordx2 s[20:21], s[16:17], 0x0
	s_load_dwordx2 s[2:3], s[18:19], 0x0
	v_cmp_lt_u64_e64 s0, s[14:15], 2
	v_mov_b32_e32 v87, v41
	v_mov_b32_e32 v86, v40
	s_and_b32 vcc_lo, exec_lo, s0
	s_cbranch_vccnz .LBB0_8
; %bb.1:
	s_load_dwordx2 s[0:1], s[4:5], 0x10
	v_mov_b32_e32 v4, 0
	v_mov_b32_e32 v5, 0
	s_add_u32 s6, s18, 8
	v_mov_b32_e32 v6, v40
	s_addc_u32 s7, s19, 0
	v_mov_b32_e32 v7, v41
	v_mov_b32_e32 v85, v5
	s_add_u32 s22, s16, 8
	v_mov_b32_e32 v84, v4
	s_addc_u32 s23, s17, 0
	s_mov_b64 s[26:27], 1
	s_waitcnt lgkmcnt(0)
	s_add_u32 s24, s0, 8
	s_addc_u32 s25, s1, 0
.LBB0_2:                                ; =>This Inner Loop Header: Depth=1
	s_load_dwordx2 s[28:29], s[24:25], 0x0
                                        ; implicit-def: $vgpr86_vgpr87
	s_mov_b32 s0, exec_lo
	s_waitcnt lgkmcnt(0)
	v_or_b32_e32 v2, s29, v7
	v_cmpx_ne_u64_e32 0, v[1:2]
	s_xor_b32 s1, exec_lo, s0
	s_cbranch_execz .LBB0_4
; %bb.3:                                ;   in Loop: Header=BB0_2 Depth=1
	v_cvt_f32_u32_e32 v2, s28
	v_cvt_f32_u32_e32 v3, s29
	s_sub_u32 s0, 0, s28
	s_subb_u32 s30, 0, s29
	v_fmac_f32_e32 v2, 0x4f800000, v3
	v_rcp_f32_e32 v2, v2
	v_mul_f32_e32 v2, 0x5f7ffffc, v2
	v_mul_f32_e32 v3, 0x2f800000, v2
	v_trunc_f32_e32 v3, v3
	v_fmac_f32_e32 v2, 0xcf800000, v3
	v_cvt_u32_f32_e32 v3, v3
	v_cvt_u32_f32_e32 v2, v2
	v_mul_lo_u32 v8, s0, v3
	v_mul_hi_u32 v9, s0, v2
	v_mul_lo_u32 v10, s30, v2
	v_add_nc_u32_e32 v8, v9, v8
	v_mul_lo_u32 v9, s0, v2
	v_add_nc_u32_e32 v8, v8, v10
	v_mul_hi_u32 v10, v2, v9
	v_mul_lo_u32 v11, v2, v8
	v_mul_hi_u32 v12, v2, v8
	v_mul_hi_u32 v13, v3, v9
	v_mul_lo_u32 v9, v3, v9
	v_mul_hi_u32 v14, v3, v8
	v_mul_lo_u32 v8, v3, v8
	v_add_co_u32 v10, vcc_lo, v10, v11
	v_add_co_ci_u32_e32 v11, vcc_lo, 0, v12, vcc_lo
	v_add_co_u32 v9, vcc_lo, v10, v9
	v_add_co_ci_u32_e32 v9, vcc_lo, v11, v13, vcc_lo
	v_add_co_ci_u32_e32 v10, vcc_lo, 0, v14, vcc_lo
	v_add_co_u32 v8, vcc_lo, v9, v8
	v_add_co_ci_u32_e32 v9, vcc_lo, 0, v10, vcc_lo
	v_add_co_u32 v2, vcc_lo, v2, v8
	v_add_co_ci_u32_e32 v3, vcc_lo, v3, v9, vcc_lo
	v_mul_hi_u32 v8, s0, v2
	v_mul_lo_u32 v10, s30, v2
	v_mul_lo_u32 v9, s0, v3
	v_add_nc_u32_e32 v8, v8, v9
	v_mul_lo_u32 v9, s0, v2
	v_add_nc_u32_e32 v8, v8, v10
	v_mul_hi_u32 v10, v2, v9
	v_mul_lo_u32 v11, v2, v8
	v_mul_hi_u32 v12, v2, v8
	v_mul_hi_u32 v13, v3, v9
	v_mul_lo_u32 v9, v3, v9
	v_mul_hi_u32 v14, v3, v8
	v_mul_lo_u32 v8, v3, v8
	v_add_co_u32 v10, vcc_lo, v10, v11
	v_add_co_ci_u32_e32 v11, vcc_lo, 0, v12, vcc_lo
	v_add_co_u32 v9, vcc_lo, v10, v9
	v_add_co_ci_u32_e32 v9, vcc_lo, v11, v13, vcc_lo
	v_add_co_ci_u32_e32 v10, vcc_lo, 0, v14, vcc_lo
	v_add_co_u32 v8, vcc_lo, v9, v8
	v_add_co_ci_u32_e32 v9, vcc_lo, 0, v10, vcc_lo
	v_add_co_u32 v8, vcc_lo, v2, v8
	v_add_co_ci_u32_e32 v10, vcc_lo, v3, v9, vcc_lo
	v_mul_hi_u32 v12, v6, v8
	v_mad_u64_u32 v[8:9], null, v7, v8, 0
	v_mad_u64_u32 v[2:3], null, v6, v10, 0
	;; [unrolled: 1-line block ×3, first 2 shown]
	v_add_co_u32 v2, vcc_lo, v12, v2
	v_add_co_ci_u32_e32 v3, vcc_lo, 0, v3, vcc_lo
	v_add_co_u32 v2, vcc_lo, v2, v8
	v_add_co_ci_u32_e32 v2, vcc_lo, v3, v9, vcc_lo
	v_add_co_ci_u32_e32 v3, vcc_lo, 0, v11, vcc_lo
	v_add_co_u32 v8, vcc_lo, v2, v10
	v_add_co_ci_u32_e32 v9, vcc_lo, 0, v3, vcc_lo
	v_mul_lo_u32 v10, s29, v8
	v_mad_u64_u32 v[2:3], null, s28, v8, 0
	v_mul_lo_u32 v11, s28, v9
	v_sub_co_u32 v2, vcc_lo, v6, v2
	v_add3_u32 v3, v3, v11, v10
	v_sub_nc_u32_e32 v10, v7, v3
	v_subrev_co_ci_u32_e64 v10, s0, s29, v10, vcc_lo
	v_add_co_u32 v11, s0, v8, 2
	v_add_co_ci_u32_e64 v12, s0, 0, v9, s0
	v_sub_co_u32 v13, s0, v2, s28
	v_sub_co_ci_u32_e32 v3, vcc_lo, v7, v3, vcc_lo
	v_subrev_co_ci_u32_e64 v10, s0, 0, v10, s0
	v_cmp_le_u32_e32 vcc_lo, s28, v13
	v_cmp_eq_u32_e64 s0, s29, v3
	v_cndmask_b32_e64 v13, 0, -1, vcc_lo
	v_cmp_le_u32_e32 vcc_lo, s29, v10
	v_cndmask_b32_e64 v14, 0, -1, vcc_lo
	v_cmp_le_u32_e32 vcc_lo, s28, v2
	;; [unrolled: 2-line block ×3, first 2 shown]
	v_cndmask_b32_e64 v15, 0, -1, vcc_lo
	v_cmp_eq_u32_e32 vcc_lo, s29, v10
	v_cndmask_b32_e64 v2, v15, v2, s0
	v_cndmask_b32_e32 v10, v14, v13, vcc_lo
	v_add_co_u32 v13, vcc_lo, v8, 1
	v_add_co_ci_u32_e32 v14, vcc_lo, 0, v9, vcc_lo
	v_cmp_ne_u32_e32 vcc_lo, 0, v10
	v_cndmask_b32_e32 v3, v14, v12, vcc_lo
	v_cndmask_b32_e32 v10, v13, v11, vcc_lo
	v_cmp_ne_u32_e32 vcc_lo, 0, v2
	v_cndmask_b32_e32 v87, v9, v3, vcc_lo
	v_cndmask_b32_e32 v86, v8, v10, vcc_lo
.LBB0_4:                                ;   in Loop: Header=BB0_2 Depth=1
	s_andn2_saveexec_b32 s0, s1
	s_cbranch_execz .LBB0_6
; %bb.5:                                ;   in Loop: Header=BB0_2 Depth=1
	v_cvt_f32_u32_e32 v2, s28
	s_sub_i32 s1, 0, s28
	v_mov_b32_e32 v87, v1
	v_rcp_iflag_f32_e32 v2, v2
	v_mul_f32_e32 v2, 0x4f7ffffe, v2
	v_cvt_u32_f32_e32 v2, v2
	v_mul_lo_u32 v3, s1, v2
	v_mul_hi_u32 v3, v2, v3
	v_add_nc_u32_e32 v2, v2, v3
	v_mul_hi_u32 v2, v6, v2
	v_mul_lo_u32 v3, v2, s28
	v_add_nc_u32_e32 v8, 1, v2
	v_sub_nc_u32_e32 v3, v6, v3
	v_subrev_nc_u32_e32 v9, s28, v3
	v_cmp_le_u32_e32 vcc_lo, s28, v3
	v_cndmask_b32_e32 v3, v3, v9, vcc_lo
	v_cndmask_b32_e32 v2, v2, v8, vcc_lo
	v_cmp_le_u32_e32 vcc_lo, s28, v3
	v_add_nc_u32_e32 v8, 1, v2
	v_cndmask_b32_e32 v86, v2, v8, vcc_lo
.LBB0_6:                                ;   in Loop: Header=BB0_2 Depth=1
	s_or_b32 exec_lo, exec_lo, s0
	v_mul_lo_u32 v8, v87, s28
	v_mul_lo_u32 v9, v86, s29
	s_load_dwordx2 s[0:1], s[22:23], 0x0
	v_mad_u64_u32 v[2:3], null, v86, s28, 0
	s_load_dwordx2 s[28:29], s[6:7], 0x0
	s_add_u32 s26, s26, 1
	s_addc_u32 s27, s27, 0
	s_add_u32 s6, s6, 8
	s_addc_u32 s7, s7, 0
	s_add_u32 s22, s22, 8
	v_add3_u32 v3, v3, v9, v8
	v_sub_co_u32 v2, vcc_lo, v6, v2
	s_addc_u32 s23, s23, 0
	s_add_u32 s24, s24, 8
	v_sub_co_ci_u32_e32 v3, vcc_lo, v7, v3, vcc_lo
	s_addc_u32 s25, s25, 0
	s_waitcnt lgkmcnt(0)
	v_mul_lo_u32 v6, s0, v3
	v_mul_lo_u32 v7, s1, v2
	v_mad_u64_u32 v[4:5], null, s0, v2, v[4:5]
	v_mul_lo_u32 v3, s28, v3
	v_mul_lo_u32 v8, s29, v2
	v_mad_u64_u32 v[84:85], null, s28, v2, v[84:85]
	v_cmp_ge_u64_e64 s0, s[26:27], s[14:15]
	v_add3_u32 v5, v7, v5, v6
	v_add3_u32 v85, v8, v85, v3
	s_and_b32 vcc_lo, exec_lo, s0
	s_cbranch_vccnz .LBB0_8
; %bb.7:                                ;   in Loop: Header=BB0_2 Depth=1
	v_mov_b32_e32 v6, v86
	v_mov_b32_e32 v7, v87
	s_branch .LBB0_2
.LBB0_8:
	s_load_dwordx2 s[0:1], s[4:5], 0x28
	v_mul_hi_u32 v1, 0xba2e8bb, v0
	s_lshl_b64 s[6:7], s[14:15], 3
                                        ; implicit-def: $vgpr90
                                        ; implicit-def: $vgpr41
                                        ; implicit-def: $vgpr42
                                        ; implicit-def: $vgpr43
                                        ; implicit-def: $vgpr44
	s_add_u32 s4, s18, s6
	s_addc_u32 s5, s19, s7
	s_waitcnt lgkmcnt(0)
	v_cmp_gt_u64_e32 vcc_lo, s[0:1], v[86:87]
	v_cmp_le_u64_e64 s0, s[0:1], v[86:87]
	s_and_saveexec_b32 s1, s0
	s_xor_b32 s0, exec_lo, s1
; %bb.9:
	v_mul_u32_u24_e32 v1, 22, v1
                                        ; implicit-def: $vgpr4_vgpr5
	v_sub_nc_u32_e32 v90, v0, v1
                                        ; implicit-def: $vgpr1
                                        ; implicit-def: $vgpr0
	v_add_nc_u32_e32 v41, 22, v90
	v_add_nc_u32_e32 v42, 44, v90
	v_add_nc_u32_e32 v43, 0x42, v90
	v_add_nc_u32_e32 v44, 0x58, v90
; %bb.10:
	s_or_saveexec_b32 s1, s0
                                        ; implicit-def: $vgpr10_vgpr11
                                        ; implicit-def: $vgpr6_vgpr7
                                        ; implicit-def: $vgpr14_vgpr15
                                        ; implicit-def: $vgpr18_vgpr19
                                        ; implicit-def: $vgpr26_vgpr27
                                        ; implicit-def: $vgpr30_vgpr31
                                        ; implicit-def: $vgpr34_vgpr35
                                        ; implicit-def: $vgpr38_vgpr39
                                        ; implicit-def: $vgpr22_vgpr23
                                        ; implicit-def: $vgpr2_vgpr3
	s_xor_b32 exec_lo, exec_lo, s1
	s_cbranch_execz .LBB0_12
; %bb.11:
	s_add_u32 s6, s16, s6
	s_addc_u32 s7, s17, s7
	v_mul_u32_u24_e32 v1, 22, v1
	s_load_dwordx2 s[6:7], s[6:7], 0x0
	v_lshlrev_b64 v[4:5], 4, v[4:5]
	v_sub_nc_u32_e32 v90, v0, v1
	v_add_nc_u32_e32 v41, 22, v90
	v_mad_u64_u32 v[0:1], null, s20, v90, 0
	v_add_nc_u32_e32 v42, 44, v90
	v_add_nc_u32_e32 v43, 0x42, v90
	v_mad_u64_u32 v[2:3], null, s20, v41, 0
	v_add_nc_u32_e32 v44, 0x58, v90
	v_mad_u64_u32 v[6:7], null, s20, v42, 0
	v_mad_u64_u32 v[8:9], null, s20, v43, 0
	s_waitcnt lgkmcnt(0)
	v_mul_lo_u32 v14, s7, v86
	v_mul_lo_u32 v15, s6, v87
	v_mad_u64_u32 v[10:11], null, s6, v86, 0
	v_mad_u64_u32 v[12:13], null, s21, v90, v[1:2]
	v_mov_b32_e32 v1, v3
	v_mov_b32_e32 v3, v7
	;; [unrolled: 1-line block ×3, first 2 shown]
	v_add_nc_u32_e32 v18, 0x84, v90
	v_add3_u32 v11, v11, v15, v14
	v_mad_u64_u32 v[13:14], null, s21, v41, v[1:2]
	v_mov_b32_e32 v1, v12
	v_mad_u64_u32 v[14:15], null, s21, v42, v[3:4]
	v_lshlrev_b64 v[9:10], 4, v[10:11]
	v_mad_u64_u32 v[11:12], null, s21, v43, v[7:8]
	v_mov_b32_e32 v3, v13
	v_lshlrev_b64 v[0:1], 4, v[0:1]
	v_mad_u64_u32 v[12:13], null, s20, v44, 0
	v_add_co_u32 v9, s0, s8, v9
	v_add_co_ci_u32_e64 v10, s0, s9, v10, s0
	v_lshlrev_b64 v[2:3], 4, v[2:3]
	v_add_co_u32 v26, s0, v9, v4
	v_add_co_ci_u32_e64 v27, s0, v10, v5, s0
	v_mov_b32_e32 v7, v14
	v_add_co_u32 v0, s0, v26, v0
	v_add_co_ci_u32_e64 v1, s0, v27, v1, s0
	v_add_co_u32 v4, s0, v26, v2
	v_lshlrev_b64 v[6:7], 4, v[6:7]
	v_add_co_ci_u32_e64 v5, s0, v27, v3, s0
	v_mov_b32_e32 v9, v11
	s_clause 0x1
	global_load_dwordx4 v[0:3], v[0:1], off
	global_load_dwordx4 v[20:23], v[4:5], off
	v_add_co_u32 v4, s0, v26, v6
	v_add_co_ci_u32_e64 v5, s0, v27, v7, s0
	v_lshlrev_b64 v[7:8], 4, v[8:9]
	v_add_nc_u32_e32 v11, 0x6e, v90
	v_mov_b32_e32 v6, v13
	v_add_nc_u32_e32 v19, 0x9a, v90
	v_add_nc_u32_e32 v24, 0xc6, v90
	v_mad_u64_u32 v[9:10], null, s20, v11, 0
	v_mad_u64_u32 v[13:14], null, s21, v44, v[6:7]
	;; [unrolled: 1-line block ×3, first 2 shown]
	v_add_co_u32 v6, s0, v26, v7
	v_add_co_ci_u32_e64 v7, s0, v27, v8, s0
	v_mad_u64_u32 v[16:17], null, s20, v19, 0
	v_mov_b32_e32 v8, v10
	s_clause 0x1
	global_load_dwordx4 v[36:39], v[4:5], off
	global_load_dwordx4 v[32:35], v[6:7], off
	v_lshlrev_b64 v[5:6], 4, v[12:13]
	v_mov_b32_e32 v4, v15
	v_add_nc_u32_e32 v13, 0xb0, v90
	v_mad_u64_u32 v[10:11], null, s21, v11, v[8:9]
	v_mad_u64_u32 v[7:8], null, s21, v18, v[4:5]
	v_mov_b32_e32 v4, v17
	v_mad_u64_u32 v[11:12], null, s20, v13, 0
	v_lshlrev_b64 v[8:9], 4, v[9:10]
	v_mad_u64_u32 v[17:18], null, s21, v19, v[4:5]
	v_mad_u64_u32 v[18:19], null, s20, v24, 0
	v_add_co_u32 v4, s0, v26, v5
	v_add_co_ci_u32_e64 v5, s0, v27, v6, s0
	v_mov_b32_e32 v6, v12
	v_mov_b32_e32 v15, v7
	v_add_co_u32 v8, s0, v26, v8
	v_add_co_ci_u32_e64 v9, s0, v27, v9, s0
	v_mad_u64_u32 v[6:7], null, s21, v13, v[6:7]
	v_mov_b32_e32 v7, v19
	v_lshlrev_b64 v[13:14], 4, v[14:15]
	v_lshlrev_b64 v[15:16], 4, v[16:17]
	v_mad_u64_u32 v[24:25], null, s21, v24, v[7:8]
	v_mov_b32_e32 v12, v6
	v_add_co_u32 v6, s0, v26, v13
	v_add_co_ci_u32_e64 v7, s0, v27, v14, s0
	v_lshlrev_b64 v[10:11], 4, v[11:12]
	v_mov_b32_e32 v19, v24
	v_add_co_u32 v12, s0, v26, v15
	v_add_co_ci_u32_e64 v13, s0, v27, v16, s0
	v_lshlrev_b64 v[14:15], 4, v[18:19]
	v_add_co_u32 v10, s0, v26, v10
	v_add_co_ci_u32_e64 v11, s0, v27, v11, s0
	v_add_co_u32 v45, s0, v26, v14
	v_add_co_ci_u32_e64 v46, s0, v27, v15, s0
	s_clause 0x5
	global_load_dwordx4 v[28:31], v[4:5], off
	global_load_dwordx4 v[24:27], v[8:9], off
	;; [unrolled: 1-line block ×6, first 2 shown]
.LBB0_12:
	s_or_b32 exec_lo, exec_lo, s1
	s_waitcnt vmcnt(2)
	v_add_f64 v[47:48], v[12:13], v[24:25]
	s_waitcnt vmcnt(0)
	v_add_f64 v[45:46], v[8:9], v[32:33]
	v_add_f64 v[63:64], v[10:11], v[34:35]
	;; [unrolled: 1-line block ×3, first 2 shown]
	v_add_f64 v[81:82], v[34:35], -v[10:11]
	v_add_f64 v[88:89], v[26:27], -v[14:15]
	;; [unrolled: 1-line block ×3, first 2 shown]
	v_add_f64 v[95:96], v[34:35], v[22:23]
	v_add_f64 v[99:100], v[32:33], -v[8:9]
	s_mov_b32 s6, 0x134454ff
	s_mov_b32 s7, 0x3fee6f0e
	;; [unrolled: 1-line block ×4, first 2 shown]
	v_add_f64 v[49:50], v[16:17], v[28:29]
	v_add_f64 v[51:52], v[4:5], v[36:37]
	;; [unrolled: 1-line block ×3, first 2 shown]
	v_add_f64 v[97:98], v[32:33], -v[24:25]
	v_add_f64 v[103:104], v[8:9], -v[12:13]
	v_add_f64 v[55:56], v[6:7], v[38:39]
	v_add_f64 v[105:106], v[12:13], -v[8:9]
	v_add_f64 v[57:58], v[36:37], v[0:1]
	v_add_f64 v[109:110], v[14:15], -v[10:11]
	v_fma_f64 v[47:48], v[47:48], -0.5, v[20:21]
	v_fma_f64 v[45:46], v[45:46], -0.5, v[20:21]
	;; [unrolled: 1-line block ×4, first 2 shown]
	v_add_f64 v[20:21], v[32:33], v[20:21]
	v_add_f64 v[32:33], v[24:25], -v[32:33]
	v_add_f64 v[65:66], v[34:35], -v[26:27]
	v_add_f64 v[34:35], v[26:27], -v[34:35]
	v_add_f64 v[59:60], v[38:39], v[2:3]
	v_add_f64 v[107:108], v[10:11], -v[14:15]
	s_mov_b32 s14, 0x4755a5e
	s_mov_b32 s15, 0x3fe2cf23
	;; [unrolled: 1-line block ×4, first 2 shown]
	v_add_f64 v[61:62], v[38:39], -v[6:7]
	v_add_f64 v[67:68], v[36:37], -v[28:29]
	v_add_f64 v[69:70], v[28:29], -v[36:37]
	v_add_f64 v[36:37], v[36:37], -v[4:5]
	v_add_f64 v[73:74], v[30:31], -v[18:19]
	v_add_f64 v[77:78], v[4:5], -v[16:17]
	v_fma_f64 v[49:50], v[49:50], -0.5, v[0:1]
	v_fma_f64 v[0:1], v[51:52], -0.5, v[0:1]
	v_fma_f64 v[113:114], v[81:82], s[6:7], v[47:48]
	v_fma_f64 v[111:112], v[88:89], s[6:7], v[45:46]
	;; [unrolled: 1-line block ×6, first 2 shown]
	v_fma_f64 v[51:52], v[53:54], -0.5, v[2:3]
	v_add_f64 v[53:54], v[103:104], v[97:98]
	v_fma_f64 v[22:23], v[99:100], s[0:1], v[22:23]
	v_add_f64 v[71:72], v[38:39], -v[30:31]
	v_add_f64 v[75:76], v[28:29], -v[16:17]
	v_add_f64 v[79:80], v[16:17], -v[4:5]
	v_add_f64 v[91:92], v[6:7], -v[18:19]
	v_add_f64 v[32:33], v[105:106], v[32:33]
	v_fma_f64 v[63:64], v[101:102], s[6:7], v[63:64]
	v_fma_f64 v[2:3], v[55:56], -0.5, v[2:3]
	v_add_f64 v[28:29], v[28:29], v[57:58]
	v_add_f64 v[34:35], v[109:110], v[34:35]
	v_add_f64 v[38:39], v[30:31], -v[38:39]
	v_add_f64 v[30:31], v[30:31], v[59:60]
	v_add_f64 v[55:56], v[107:108], v[65:66]
	s_mov_b32 s16, 0x372fe950
	v_fma_f64 v[103:104], v[88:89], s[14:15], v[113:114]
	v_fma_f64 v[97:98], v[81:82], s[8:9], v[111:112]
	;; [unrolled: 1-line block ×6, first 2 shown]
	s_mov_b32 s17, 0x3fd3c6ef
	v_add_f64 v[20:21], v[24:25], v[20:21]
	v_add_f64 v[24:25], v[26:27], v[95:96]
	;; [unrolled: 1-line block ×3, first 2 shown]
	v_fma_f64 v[65:66], v[61:62], s[6:7], v[49:50]
	v_fma_f64 v[49:50], v[61:62], s[0:1], v[49:50]
	;; [unrolled: 1-line block ×6, first 2 shown]
	v_add_f64 v[93:94], v[18:19], -v[6:7]
	v_fma_f64 v[51:52], v[36:37], s[6:7], v[51:52]
	v_fma_f64 v[63:64], v[99:100], s[8:9], v[63:64]
	v_add_f64 v[16:17], v[16:17], v[28:29]
	s_mov_b32 s18, 0x9b97f4a8
	s_mov_b32 s19, 0x3fe9e377
	v_fma_f64 v[88:89], v[53:54], s[16:17], v[103:104]
	v_fma_f64 v[81:82], v[32:33], s[16:17], v[97:98]
	;; [unrolled: 1-line block ×3, first 2 shown]
	v_add_f64 v[45:46], v[79:80], v[69:70]
	v_add_f64 v[69:70], v[91:92], v[71:72]
	v_fma_f64 v[71:72], v[75:76], s[6:7], v[2:3]
	v_fma_f64 v[2:3], v[75:76], s[0:1], v[2:3]
	;; [unrolled: 1-line block ×5, first 2 shown]
	v_add_f64 v[18:19], v[18:19], v[30:31]
	v_add_f64 v[12:13], v[12:13], v[20:21]
	;; [unrolled: 1-line block ×3, first 2 shown]
	v_fma_f64 v[20:21], v[73:74], s[14:15], v[65:66]
	v_fma_f64 v[24:25], v[73:74], s[8:9], v[49:50]
	;; [unrolled: 1-line block ×8, first 2 shown]
	v_add_f64 v[38:39], v[93:94], v[38:39]
	v_mul_f64 v[57:58], v[88:89], s[18:19]
	v_mul_f64 v[61:62], v[88:89], s[8:9]
	;; [unrolled: 1-line block ×5, first 2 shown]
	v_fma_f64 v[63:64], v[36:37], s[8:9], v[71:72]
	v_fma_f64 v[2:3], v[36:37], s[14:15], v[2:3]
	v_mul_f64 v[65:66], v[28:29], s[16:17]
	v_mul_f64 v[36:37], v[47:48], s[18:19]
	;; [unrolled: 1-line block ×3, first 2 shown]
	v_mul_hi_u32 v83, 0xcccccccd, v40
	v_add_f64 v[4:5], v[4:5], v[16:17]
	v_add_f64 v[6:7], v[6:7], v[18:19]
	;; [unrolled: 1-line block ×4, first 2 shown]
	v_fma_f64 v[14:15], v[26:27], s[16:17], v[20:21]
	v_fma_f64 v[30:31], v[45:46], s[16:17], v[30:31]
	;; [unrolled: 1-line block ×6, first 2 shown]
	v_lshrrev_b32_e32 v73, 2, v83
	v_fma_f64 v[20:21], v[22:23], s[14:15], v[57:58]
	v_fma_f64 v[22:23], v[22:23], s[18:19], v[61:62]
	v_fma_f64 v[51:52], v[28:29], s[6:7], -v[55:56]
	v_fma_f64 v[28:29], v[34:35], s[6:7], v[59:60]
	v_fma_f64 v[32:33], v[34:35], s[16:17], v[32:33]
	;; [unrolled: 1-line block ×4, first 2 shown]
	v_fma_f64 v[34:35], v[81:82], s[0:1], -v[65:66]
	v_fma_f64 v[36:37], v[53:54], s[14:15], -v[36:37]
	;; [unrolled: 1-line block ×3, first 2 shown]
	v_lshl_add_u32 v0, v73, 2, v73
	v_and_b32_e32 v54, 0xff, v41
	s_load_dwordx2 s[30:31], s[4:5], 0x0
	v_cmp_gt_u32_e64 s0, 20, v90
	v_add_f64 v[2:3], v[10:11], v[6:7]
	v_sub_nc_u32_e32 v0, v40, v0
	v_add_f64 v[6:7], v[6:7], -v[10:11]
	v_mul_u32_u24_e32 v40, 0xdc, v0
	v_add_f64 v[0:1], v[8:9], v[4:5]
	v_add_f64 v[4:5], v[4:5], -v[8:9]
	v_add_f64 v[8:9], v[14:15], v[20:21]
	v_add_f64 v[10:11], v[18:19], v[22:23]
	;; [unrolled: 1-line block ×3, first 2 shown]
	v_add_f64 v[20:21], v[14:15], -v[20:21]
	v_add_f64 v[14:15], v[55:56], v[32:33]
	v_add_f64 v[16:17], v[45:46], v[51:52]
	v_add_f64 v[22:23], v[18:19], -v[22:23]
	v_add_f64 v[18:19], v[38:39], v[34:35]
	v_add_f64 v[24:25], v[71:72], v[36:37]
	;; [unrolled: 1-line block ×3, first 2 shown]
	v_add_f64 v[28:29], v[30:31], -v[28:29]
	v_add_f64 v[30:31], v[55:56], -v[32:33]
	v_lshlrev_b32_e32 v40, 4, v40
	v_mul_u32_u24_e32 v32, 10, v90
	v_and_b32_e32 v33, 0xff, v90
	v_add_f64 v[34:35], v[38:39], -v[34:35]
	v_add_f64 v[36:37], v[71:72], -v[36:37]
	v_add_nc_u32_e32 v53, 0, v40
	v_add_f64 v[38:39], v[49:50], -v[47:48]
	v_mul_lo_u16 v55, 0xcd, v33
	v_lshl_add_u32 v56, v32, 4, v53
	v_add_f64 v[32:33], v[45:46], -v[51:52]
	v_mul_lo_u16 v45, 0xcd, v54
	ds_write_b128 v56, v[0:3]
	ds_write_b128 v56, v[8:11] offset:16
	ds_write_b128 v56, v[12:15] offset:32
	;; [unrolled: 1-line block ×4, first 2 shown]
	v_and_b32_e32 v1, 0xff, v42
	v_lshrrev_b16 v65, 11, v55
	v_and_b32_e32 v3, 0xff, v43
	ds_write_b128 v56, v[4:7] offset:80
	ds_write_b128 v56, v[20:23] offset:96
	;; [unrolled: 1-line block ×3, first 2 shown]
	v_and_b32_e32 v4, 0xff, v44
	v_lshrrev_b16 v66, 11, v45
	v_mul_lo_u16 v1, 0xcd, v1
	v_mul_lo_u16 v0, v65, 10
	;; [unrolled: 1-line block ×5, first 2 shown]
	v_lshrrev_b16 v67, 11, v1
	v_sub_nc_u16 v0, v90, v0
	v_mov_b32_e32 v8, 4
	v_lshrrev_b16 v68, 11, v3
	v_lshrrev_b16 v69, 11, v4
	v_sub_nc_u16 v1, v41, v2
	v_mul_lo_u16 v2, v67, 10
	v_lshlrev_b32_sdwa v70, v8, v0 dst_sel:DWORD dst_unused:UNUSED_PAD src0_sel:DWORD src1_sel:BYTE_0
	v_mul_lo_u16 v0, v68, 10
	v_mul_lo_u16 v3, v69, 10
	v_lshlrev_b32_sdwa v71, v8, v1 dst_sel:DWORD dst_unused:UNUSED_PAD src0_sel:DWORD src1_sel:BYTE_0
	v_sub_nc_u16 v2, v42, v2
	ds_write_b128 v56, v[32:35] offset:128
	v_sub_nc_u16 v4, v43, v0
	v_sub_nc_u16 v9, v44, v3
	ds_write_b128 v56, v[36:39] offset:144
	v_lshlrev_b32_sdwa v72, v8, v2 dst_sel:DWORD dst_unused:UNUSED_PAD src0_sel:DWORD src1_sel:BYTE_0
	s_waitcnt lgkmcnt(0)
	v_lshlrev_b32_sdwa v73, v8, v4 dst_sel:DWORD dst_unused:UNUSED_PAD src0_sel:DWORD src1_sel:BYTE_0
	v_lshlrev_b32_sdwa v74, v8, v9 dst_sel:DWORD dst_unused:UNUSED_PAD src0_sel:DWORD src1_sel:BYTE_0
	s_barrier
	buffer_gl0_inv
	s_clause 0x4
	global_load_dwordx4 v[0:3], v70, s[12:13]
	global_load_dwordx4 v[4:7], v71, s[12:13]
	;; [unrolled: 1-line block ×5, first 2 shown]
	v_mad_i32_i24 v45, 0xffffff70, v90, v56
	ds_read_b128 v[20:23], v45 offset:1760
	ds_read_b128 v[24:27], v45 offset:2112
	;; [unrolled: 1-line block ×5, first 2 shown]
	v_lshl_add_u32 v46, v90, 4, v53
	v_lshl_add_u32 v41, v41, 4, v53
	;; [unrolled: 1-line block ×5, first 2 shown]
	ds_read_b128 v[47:50], v46
	ds_read_b128 v[41:44], v41
	;; [unrolled: 1-line block ×3, first 2 shown]
	s_waitcnt vmcnt(4) lgkmcnt(7)
	v_mul_f64 v[55:56], v[22:23], v[2:3]
	v_mul_f64 v[2:3], v[20:21], v[2:3]
	s_waitcnt vmcnt(3) lgkmcnt(6)
	v_mul_f64 v[57:58], v[26:27], v[6:7]
	v_mul_f64 v[6:7], v[24:25], v[6:7]
	;; [unrolled: 3-line block ×5, first 2 shown]
	v_fma_f64 v[20:21], v[20:21], v[0:1], -v[55:56]
	v_fma_f64 v[0:1], v[22:23], v[0:1], v[2:3]
	v_fma_f64 v[2:3], v[24:25], v[4:5], -v[57:58]
	v_fma_f64 v[22:23], v[26:27], v[4:5], v[6:7]
	v_fma_f64 v[24:25], v[28:29], v[8:9], -v[59:60]
	v_fma_f64 v[26:27], v[30:31], v[8:9], v[10:11]
	v_fma_f64 v[28:29], v[32:33], v[12:13], -v[61:62]
	v_fma_f64 v[30:31], v[34:35], v[12:13], v[14:15]
	v_fma_f64 v[55:56], v[36:37], v[16:17], -v[63:64]
	v_fma_f64 v[57:58], v[38:39], v[16:17], v[18:19]
	ds_read_b128 v[32:35], v75
	ds_read_b128 v[36:39], v76
	v_and_b32_e32 v59, 0xffff, v69
	s_waitcnt lgkmcnt(0)
	s_barrier
	buffer_gl0_inv
	v_add_f64 v[4:5], v[47:48], -v[20:21]
	v_add_f64 v[6:7], v[49:50], -v[0:1]
	;; [unrolled: 1-line block ×10, first 2 shown]
	v_and_b32_e32 v55, 0xffff, v65
	v_and_b32_e32 v56, 0xffff, v66
	;; [unrolled: 1-line block ×4, first 2 shown]
	v_fma_f64 v[0:1], v[47:48], 2.0, -v[4:5]
	v_fma_f64 v[2:3], v[49:50], 2.0, -v[6:7]
	;; [unrolled: 1-line block ×6, first 2 shown]
	v_mad_u32_u24 v41, 0x140, v55, 0
	v_mad_u32_u24 v42, 0x140, v56, 0
	v_fma_f64 v[32:33], v[32:33], 2.0, -v[16:17]
	v_fma_f64 v[34:35], v[34:35], 2.0, -v[18:19]
	;; [unrolled: 1-line block ×4, first 2 shown]
	v_mad_u32_u24 v43, 0x140, v57, 0
	v_mad_u32_u24 v44, 0x140, v58, 0
	;; [unrolled: 1-line block ×3, first 2 shown]
	v_add3_u32 v41, v41, v70, v40
	v_add3_u32 v42, v42, v71, v40
	;; [unrolled: 1-line block ×5, first 2 shown]
	ds_write_b128 v41, v[4:7] offset:160
	ds_write_b128 v41, v[0:3]
	ds_write_b128 v42, v[24:27]
	ds_write_b128 v42, v[8:11] offset:160
	ds_write_b128 v43, v[28:31]
	ds_write_b128 v43, v[12:15] offset:160
	;; [unrolled: 2-line block ×4, first 2 shown]
	s_waitcnt lgkmcnt(0)
	s_barrier
	buffer_gl0_inv
                                        ; implicit-def: $vgpr42_vgpr43
	s_and_saveexec_b32 s1, s0
	s_cbranch_execz .LBB0_14
; %bb.13:
	ds_read_b128 v[0:3], v46
	ds_read_b128 v[4:7], v45 offset:320
	ds_read_b128 v[24:27], v45 offset:640
	;; [unrolled: 1-line block ×10, first 2 shown]
.LBB0_14:
	s_or_b32 exec_lo, exec_lo, s1
	v_cmp_gt_u32_e64 s1, 20, v90
	s_and_b32 s1, vcc_lo, s1
	s_and_saveexec_b32 s4, s1
	s_cbranch_execz .LBB0_16
; %bb.15:
	v_subrev_nc_u32_e32 v44, 20, v90
	v_mov_b32_e32 v45, 0
	v_mul_lo_u32 v111, s31, v86
	v_mul_lo_u32 v112, s30, v87
	v_mad_u64_u32 v[91:92], null, s30, v86, 0
	v_cndmask_b32_e64 v44, v44, v90, s0
	v_add_nc_u32_e32 v114, 40, v90
	v_add_nc_u32_e32 v115, 60, v90
	;; [unrolled: 1-line block ×4, first 2 shown]
	v_mul_i32_i24_e32 v44, 10, v44
	v_add_nc_u32_e32 v113, 20, v90
	v_add_nc_u32_e32 v118, 0x78, v90
	v_mad_u64_u32 v[93:94], null, s2, v90, 0
	v_lshlrev_b64 v[44:45], 4, v[44:45]
	v_add_nc_u32_e32 v119, 0x8c, v90
	v_mad_u64_u32 v[99:100], null, s2, v114, 0
	v_mad_u64_u32 v[101:102], null, s2, v115, 0
	v_add_co_u32 v80, vcc_lo, s12, v44
	v_add_co_ci_u32_e32 v81, vcc_lo, s13, v45, vcc_lo
	v_lshlrev_b64 v[95:96], 4, v[84:85]
	v_mad_u64_u32 v[103:104], null, s2, v116, 0
	s_clause 0x9
	global_load_dwordx4 v[44:47], v[80:81], off offset:160
	global_load_dwordx4 v[68:71], v[80:81], off offset:304
	;; [unrolled: 1-line block ×10, first 2 shown]
	v_add3_u32 v92, v92, v112, v111
	v_mad_u64_u32 v[105:106], null, s2, v117, 0
	v_mad_u64_u32 v[97:98], null, s2, v113, 0
	;; [unrolled: 1-line block ×4, first 2 shown]
	v_lshlrev_b64 v[91:92], 4, v[91:92]
	v_or_b32_e32 v120, 0xa0, v90
	v_add_nc_u32_e32 v121, 0xb4, v90
	v_add_nc_u32_e32 v122, 0xc8, v90
	v_mad_u64_u32 v[111:112], null, s3, v90, v[94:95]
	v_mov_b32_e32 v90, v100
	v_mov_b32_e32 v94, v102
	;; [unrolled: 1-line block ×5, first 2 shown]
	v_mad_u64_u32 v[112:113], null, s3, v113, v[98:99]
	v_mov_b32_e32 v106, v110
	v_mad_u64_u32 v[113:114], null, s3, v114, v[90:91]
	v_mad_u64_u32 v[114:115], null, s3, v115, v[94:95]
	;; [unrolled: 1-line block ×11, first 2 shown]
	v_add_co_u32 v85, vcc_lo, s10, v91
	v_add_co_ci_u32_e32 v87, vcc_lo, s11, v92, vcc_lo
	v_mov_b32_e32 v94, v111
	v_mov_b32_e32 v98, v112
	;; [unrolled: 1-line block ×8, first 2 shown]
	v_mad_u64_u32 v[89:90], null, s3, v122, v[89:90]
	v_add_co_u32 v90, vcc_lo, v85, v95
	v_add_co_ci_u32_e32 v91, vcc_lo, v87, v96, vcc_lo
	v_lshlrev_b64 v[92:93], 4, v[93:94]
	v_lshlrev_b64 v[94:95], 4, v[97:98]
	;; [unrolled: 1-line block ×8, first 2 shown]
	v_mov_b32_e32 v87, v119
	v_mov_b32_e32 v85, v120
	s_mov_b32 s0, 0x640f44db
	s_mov_b32 s22, 0xfd768dbf
	;; [unrolled: 1-line block ×6, first 2 shown]
	v_add_co_u32 v92, vcc_lo, v90, v92
	v_add_co_ci_u32_e32 v93, vcc_lo, v91, v93, vcc_lo
	v_add_co_u32 v94, vcc_lo, v90, v94
	v_add_co_ci_u32_e32 v95, vcc_lo, v91, v95, vcc_lo
	;; [unrolled: 2-line block ×5, first 2 shown]
	v_add_co_u32 v102, vcc_lo, v90, v102
	s_mov_b32 s6, 0x7f775887
	s_mov_b32 s16, 0x43842ef
	;; [unrolled: 1-line block ×9, first 2 shown]
	v_add_co_ci_u32_e32 v103, vcc_lo, v91, v103, vcc_lo
	s_mov_b32 s17, 0x3fefac9e
	s_mov_b32 s5, 0x3fda9628
	;; [unrolled: 1-line block ×15, first 2 shown]
	v_lshlrev_b64 v[86:87], 4, v[86:87]
	v_lshlrev_b64 v[84:85], 4, v[84:85]
	;; [unrolled: 1-line block ×3, first 2 shown]
	s_waitcnt vmcnt(9) lgkmcnt(9)
	v_mul_f64 v[108:109], v[6:7], v[44:45]
	s_waitcnt vmcnt(8) lgkmcnt(0)
	v_mul_f64 v[110:111], v[42:43], v[68:69]
	v_mul_f64 v[6:7], v[6:7], v[46:47]
	;; [unrolled: 1-line block ×3, first 2 shown]
	s_waitcnt vmcnt(7)
	v_mul_f64 v[112:113], v[14:15], v[60:61]
	s_waitcnt vmcnt(6)
	v_mul_f64 v[114:115], v[34:35], v[56:57]
	;; [unrolled: 2-line block ×3, first 2 shown]
	v_mul_f64 v[14:15], v[14:15], v[62:63]
	v_mul_f64 v[34:35], v[34:35], v[58:59]
	v_mul_f64 v[30:31], v[30:31], v[66:67]
	s_waitcnt vmcnt(2)
	v_mul_f64 v[122:123], v[38:39], v[52:53]
	v_mul_f64 v[38:39], v[38:39], v[54:55]
	s_waitcnt vmcnt(1)
	v_mul_f64 v[124:125], v[26:27], v[48:49]
	s_waitcnt vmcnt(0)
	v_mul_f64 v[126:127], v[22:23], v[80:81]
	v_mul_f64 v[26:27], v[26:27], v[50:51]
	;; [unrolled: 1-line block ×7, first 2 shown]
	v_fma_f64 v[46:47], v[4:5], v[46:47], v[108:109]
	v_fma_f64 v[202:203], v[40:41], v[70:71], v[110:111]
	v_fma_f64 v[4:5], v[4:5], v[44:45], -v[6:7]
	v_fma_f64 v[70:71], v[40:41], v[68:69], -v[42:43]
	v_fma_f64 v[6:7], v[12:13], v[62:63], v[112:113]
	v_fma_f64 v[44:45], v[32:33], v[58:59], v[114:115]
	v_fma_f64 v[58:59], v[28:29], v[66:67], v[116:117]
	v_fma_f64 v[12:13], v[12:13], v[60:61], -v[14:15]
	v_fma_f64 v[14:15], v[32:33], v[56:57], -v[34:35]
	;; [unrolled: 1-line block ×4, first 2 shown]
	v_fma_f64 v[32:33], v[24:25], v[50:51], v[124:125]
	v_fma_f64 v[34:35], v[20:21], v[82:83], v[126:127]
	v_fma_f64 v[24:25], v[24:25], v[48:49], -v[26:27]
	v_fma_f64 v[20:21], v[20:21], v[80:81], -v[22:23]
	v_fma_f64 v[62:63], v[16:17], v[78:79], v[118:119]
	v_fma_f64 v[16:17], v[16:17], v[76:77], -v[18:19]
	v_fma_f64 v[18:19], v[8:9], v[74:75], v[120:121]
	;; [unrolled: 2-line block ×3, first 2 shown]
	v_add_co_u32 v48, vcc_lo, v90, v104
	v_add_f64 v[22:23], v[46:47], v[202:203]
	v_add_f64 v[26:27], v[46:47], -v[202:203]
	v_add_f64 v[42:43], v[4:5], -v[70:71]
	v_add_f64 v[52:53], v[4:5], v[70:71]
	v_add_f64 v[46:47], v[2:3], v[46:47]
	;; [unrolled: 1-line block ×4, first 2 shown]
	v_add_f64 v[54:55], v[12:13], -v[14:15]
	v_add_co_ci_u32_e32 v49, vcc_lo, v91, v105, vcc_lo
	v_add_f64 v[104:105], v[6:7], -v[44:45]
	v_add_co_u32 v50, vcc_lo, v90, v106
	v_add_f64 v[66:67], v[32:33], v[34:35]
	v_add_f64 v[72:73], v[32:33], -v[34:35]
	v_add_f64 v[36:37], v[58:59], v[62:63]
	v_add_f64 v[56:57], v[28:29], -v[16:17]
	v_add_f64 v[68:69], v[24:25], -v[20:21]
	v_add_f64 v[64:65], v[8:9], -v[30:31]
	v_add_f64 v[60:61], v[18:19], v[10:11]
	v_add_f64 v[76:77], v[18:19], -v[10:11]
	v_add_f64 v[74:75], v[24:25], v[20:21]
	v_mul_f64 v[116:117], v[22:23], s[0:1]
	v_mul_f64 v[110:111], v[26:27], s[26:27]
	v_add_f64 v[80:81], v[58:59], -v[62:63]
	v_mul_f64 v[108:109], v[22:23], s[12:13]
	v_add_f64 v[32:33], v[32:33], v[46:47]
	v_add_f64 v[4:5], v[24:25], v[4:5]
	v_mul_f64 v[132:133], v[38:39], s[6:7]
	v_mul_f64 v[112:113], v[22:23], s[6:7]
	;; [unrolled: 1-line block ×20, first 2 shown]
	v_add_f64 v[18:19], v[18:19], v[32:33]
	v_add_f64 v[4:5], v[8:9], v[4:5]
	v_mul_f64 v[146:147], v[60:61], s[12:13]
	v_mul_f64 v[60:61], v[60:61], s[0:1]
	;; [unrolled: 1-line block ×8, first 2 shown]
	v_fma_f64 v[186:187], v[52:53], s[12:13], v[110:111]
	v_fma_f64 v[192:193], v[42:43], s[16:17], v[116:117]
	;; [unrolled: 1-line block ×4, first 2 shown]
	v_add_co_ci_u32_e32 v51, vcc_lo, v91, v107, vcc_lo
	v_add_f64 v[78:79], v[8:9], v[30:31]
	v_add_f64 v[82:83], v[28:29], v[16:17]
	;; [unrolled: 1-line block ×3, first 2 shown]
	v_mul_f64 v[46:47], v[72:73], s[16:17]
	v_mul_f64 v[156:157], v[72:73], s[22:23]
	;; [unrolled: 1-line block ×3, first 2 shown]
	v_add_f64 v[18:19], v[58:59], v[18:19]
	v_add_f64 v[4:5], v[28:29], v[4:5]
	v_mul_f64 v[72:73], v[72:73], s[14:15]
	v_mul_f64 v[160:161], v[76:77], s[24:25]
	;; [unrolled: 1-line block ×16, first 2 shown]
	v_fma_f64 v[184:185], v[42:43], s[22:23], v[108:109]
	v_fma_f64 v[108:109], v[42:43], s[26:27], v[108:109]
	v_fma_f64 v[110:111], v[52:53], s[12:13], -v[110:111]
	v_fma_f64 v[188:189], v[42:43], s[18:19], v[112:113]
	v_fma_f64 v[190:191], v[52:53], s[6:7], v[114:115]
	;; [unrolled: 1-line block ×3, first 2 shown]
	v_fma_f64 v[114:115], v[52:53], s[6:7], -v[114:115]
	v_fma_f64 v[194:195], v[52:53], s[0:1], v[118:119]
	v_fma_f64 v[118:119], v[52:53], s[0:1], -v[118:119]
	v_fma_f64 v[196:197], v[42:43], s[34:35], v[120:121]
	v_fma_f64 v[198:199], v[52:53], s[4:5], v[122:123]
	v_fma_f64 v[120:121], v[42:43], s[14:15], v[120:121]
	v_fma_f64 v[122:123], v[52:53], s[4:5], -v[122:123]
	v_fma_f64 v[200:201], v[42:43], s[36:37], v[22:23]
	v_fma_f64 v[22:23], v[42:43], s[20:21], v[22:23]
	;; [unrolled: 4-line block ×3, first 2 shown]
	v_fma_f64 v[204:205], v[54:55], s[14:15], v[130:131]
	v_fma_f64 v[130:131], v[54:55], s[34:35], v[130:131]
	;; [unrolled: 1-line block ×38, first 2 shown]
	v_add_f64 v[6:7], v[6:7], v[18:19]
	v_add_f64 v[4:5], v[12:13], v[4:5]
	;; [unrolled: 1-line block ×4, first 2 shown]
	buffer_store_dword v40, off, s[40:43], 0 ; 4-byte Folded Spill
	buffer_store_dword v41, off, s[40:43], 0 offset:4 ; 4-byte Folded Spill
	v_fma_f64 v[24:25], v[74:75], s[8:9], -v[24:25]
	v_fma_f64 v[230:231], v[74:75], s[0:1], v[46:47]
	v_fma_f64 v[46:47], v[74:75], s[0:1], -v[46:47]
	v_fma_f64 v[232:233], v[74:75], s[12:13], v[156:157]
	;; [unrolled: 2-line block ×19, first 2 shown]
	v_fma_f64 v[104:105], v[106:107], s[12:13], -v[104:105]
	v_add_f64 v[12:13], v[2:3], v[184:185]
	v_add_f64 v[106:107], v[2:3], v[108:109]
	;; [unrolled: 1-line block ×81, first 2 shown]
	s_clause 0x1
	buffer_load_dword v32, off, s[40:43], 0
	buffer_load_dword v33, off, s[40:43], 0 offset:4
	v_add_f64 v[36:37], v[36:37], v[22:23]
	v_add_f64 v[58:59], v[138:139], v[72:73]
	;; [unrolled: 1-line block ×19, first 2 shown]
	v_add_co_u32 v44, vcc_lo, v90, v86
	v_add_co_ci_u32_e32 v45, vcc_lo, v91, v87, vcc_lo
	v_add_f64 v[26:27], v[38:39], v[36:37]
	v_add_f64 v[22:23], v[134:135], v[58:59]
	;; [unrolled: 1-line block ×6, first 2 shown]
	v_add_co_u32 v46, vcc_lo, v90, v84
	v_add_co_ci_u32_e32 v47, vcc_lo, v91, v85, vcc_lo
	v_add_co_u32 v52, vcc_lo, v90, v88
	v_add_co_ci_u32_e32 v53, vcc_lo, v91, v89, vcc_lo
	s_waitcnt vmcnt(0)
	v_add_f64 v[34:35], v[32:33], v[64:65]
	v_add_f64 v[32:33], v[252:253], v[66:67]
	global_store_dwordx4 v[92:93], v[28:31], off
	global_store_dwordx4 v[94:95], v[24:27], off
	;; [unrolled: 1-line block ×11, first 2 shown]
.LBB0_16:
	s_endpgm
	.section	.rodata,"a",@progbits
	.p2align	6, 0x0
	.amdhsa_kernel fft_rtc_fwd_len220_factors_10_2_11_wgs_110_tpt_22_dp_op_CI_CI_sbrr_dirReg
		.amdhsa_group_segment_fixed_size 0
		.amdhsa_private_segment_fixed_size 12
		.amdhsa_kernarg_size 104
		.amdhsa_user_sgpr_count 6
		.amdhsa_user_sgpr_private_segment_buffer 1
		.amdhsa_user_sgpr_dispatch_ptr 0
		.amdhsa_user_sgpr_queue_ptr 0
		.amdhsa_user_sgpr_kernarg_segment_ptr 1
		.amdhsa_user_sgpr_dispatch_id 0
		.amdhsa_user_sgpr_flat_scratch_init 0
		.amdhsa_user_sgpr_private_segment_size 0
		.amdhsa_wavefront_size32 1
		.amdhsa_uses_dynamic_stack 0
		.amdhsa_system_sgpr_private_segment_wavefront_offset 1
		.amdhsa_system_sgpr_workgroup_id_x 1
		.amdhsa_system_sgpr_workgroup_id_y 0
		.amdhsa_system_sgpr_workgroup_id_z 0
		.amdhsa_system_sgpr_workgroup_info 0
		.amdhsa_system_vgpr_workitem_id 0
		.amdhsa_next_free_vgpr 256
		.amdhsa_next_free_sgpr 44
		.amdhsa_reserve_vcc 1
		.amdhsa_reserve_flat_scratch 0
		.amdhsa_float_round_mode_32 0
		.amdhsa_float_round_mode_16_64 0
		.amdhsa_float_denorm_mode_32 3
		.amdhsa_float_denorm_mode_16_64 3
		.amdhsa_dx10_clamp 1
		.amdhsa_ieee_mode 1
		.amdhsa_fp16_overflow 0
		.amdhsa_workgroup_processor_mode 1
		.amdhsa_memory_ordered 1
		.amdhsa_forward_progress 0
		.amdhsa_shared_vgpr_count 0
		.amdhsa_exception_fp_ieee_invalid_op 0
		.amdhsa_exception_fp_denorm_src 0
		.amdhsa_exception_fp_ieee_div_zero 0
		.amdhsa_exception_fp_ieee_overflow 0
		.amdhsa_exception_fp_ieee_underflow 0
		.amdhsa_exception_fp_ieee_inexact 0
		.amdhsa_exception_int_div_zero 0
	.end_amdhsa_kernel
	.text
.Lfunc_end0:
	.size	fft_rtc_fwd_len220_factors_10_2_11_wgs_110_tpt_22_dp_op_CI_CI_sbrr_dirReg, .Lfunc_end0-fft_rtc_fwd_len220_factors_10_2_11_wgs_110_tpt_22_dp_op_CI_CI_sbrr_dirReg
                                        ; -- End function
	.section	.AMDGPU.csdata,"",@progbits
; Kernel info:
; codeLenInByte = 8336
; NumSgprs: 46
; NumVgprs: 256
; ScratchSize: 12
; MemoryBound: 1
; FloatMode: 240
; IeeeMode: 1
; LDSByteSize: 0 bytes/workgroup (compile time only)
; SGPRBlocks: 5
; VGPRBlocks: 31
; NumSGPRsForWavesPerEU: 46
; NumVGPRsForWavesPerEU: 256
; Occupancy: 4
; WaveLimiterHint : 1
; COMPUTE_PGM_RSRC2:SCRATCH_EN: 1
; COMPUTE_PGM_RSRC2:USER_SGPR: 6
; COMPUTE_PGM_RSRC2:TRAP_HANDLER: 0
; COMPUTE_PGM_RSRC2:TGID_X_EN: 1
; COMPUTE_PGM_RSRC2:TGID_Y_EN: 0
; COMPUTE_PGM_RSRC2:TGID_Z_EN: 0
; COMPUTE_PGM_RSRC2:TIDIG_COMP_CNT: 0
	.text
	.p2alignl 6, 3214868480
	.fill 48, 4, 3214868480
	.type	__hip_cuid_369e31eb104aca91,@object ; @__hip_cuid_369e31eb104aca91
	.section	.bss,"aw",@nobits
	.globl	__hip_cuid_369e31eb104aca91
__hip_cuid_369e31eb104aca91:
	.byte	0                               ; 0x0
	.size	__hip_cuid_369e31eb104aca91, 1

	.ident	"AMD clang version 19.0.0git (https://github.com/RadeonOpenCompute/llvm-project roc-6.4.0 25133 c7fe45cf4b819c5991fe208aaa96edf142730f1d)"
	.section	".note.GNU-stack","",@progbits
	.addrsig
	.addrsig_sym __hip_cuid_369e31eb104aca91
	.amdgpu_metadata
---
amdhsa.kernels:
  - .args:
      - .actual_access:  read_only
        .address_space:  global
        .offset:         0
        .size:           8
        .value_kind:     global_buffer
      - .offset:         8
        .size:           8
        .value_kind:     by_value
      - .actual_access:  read_only
        .address_space:  global
        .offset:         16
        .size:           8
        .value_kind:     global_buffer
      - .actual_access:  read_only
        .address_space:  global
        .offset:         24
        .size:           8
        .value_kind:     global_buffer
      - .actual_access:  read_only
        .address_space:  global
        .offset:         32
        .size:           8
        .value_kind:     global_buffer
      - .offset:         40
        .size:           8
        .value_kind:     by_value
      - .actual_access:  read_only
        .address_space:  global
        .offset:         48
        .size:           8
        .value_kind:     global_buffer
      - .actual_access:  read_only
        .address_space:  global
        .offset:         56
        .size:           8
        .value_kind:     global_buffer
      - .offset:         64
        .size:           4
        .value_kind:     by_value
      - .actual_access:  read_only
        .address_space:  global
        .offset:         72
        .size:           8
        .value_kind:     global_buffer
      - .actual_access:  read_only
        .address_space:  global
        .offset:         80
        .size:           8
        .value_kind:     global_buffer
      - .actual_access:  read_only
        .address_space:  global
        .offset:         88
        .size:           8
        .value_kind:     global_buffer
      - .actual_access:  write_only
        .address_space:  global
        .offset:         96
        .size:           8
        .value_kind:     global_buffer
    .group_segment_fixed_size: 0
    .kernarg_segment_align: 8
    .kernarg_segment_size: 104
    .language:       OpenCL C
    .language_version:
      - 2
      - 0
    .max_flat_workgroup_size: 110
    .name:           fft_rtc_fwd_len220_factors_10_2_11_wgs_110_tpt_22_dp_op_CI_CI_sbrr_dirReg
    .private_segment_fixed_size: 12
    .sgpr_count:     46
    .sgpr_spill_count: 0
    .symbol:         fft_rtc_fwd_len220_factors_10_2_11_wgs_110_tpt_22_dp_op_CI_CI_sbrr_dirReg.kd
    .uniform_work_group_size: 1
    .uses_dynamic_stack: false
    .vgpr_count:     256
    .vgpr_spill_count: 2
    .wavefront_size: 32
    .workgroup_processor_mode: 1
amdhsa.target:   amdgcn-amd-amdhsa--gfx1030
amdhsa.version:
  - 1
  - 2
...

	.end_amdgpu_metadata
